;; amdgpu-corpus repo=ROCm/hip-tests kind=compiled arch=gfx906 opt=O3
	.amdgcn_target "amdgcn-amd-amdhsa--gfx906"
	.amdhsa_code_object_version 6
	.text
	.protected	_Z8test_gwsPimPyS0_     ; -- Begin function _Z8test_gwsPimPyS0_
	.globl	_Z8test_gwsPimPyS0_
	.p2align	8
	.type	_Z8test_gwsPimPyS0_,@function
_Z8test_gwsPimPyS0_:                    ; @_Z8test_gwsPimPyS0_
; %bb.0:
	s_load_dword s9, s[4:5], 0x30
	s_load_dwordx4 s[0:3], s[4:5], 0x20
	s_add_u32 s10, s4, 32
	s_addc_u32 s11, s5, 0
	v_mov_b32_e32 v4, 0
	s_waitcnt lgkmcnt(0)
	s_and_b32 s18, s9, 0xffff
	s_lshr_b32 s16, s3, 16
	s_cmp_lt_u32 s6, s0
	s_cselect_b32 s9, 12, 18
	s_add_u32 s10, s10, s9
	s_addc_u32 s11, s11, 0
	global_load_ushort v7, v4, s[10:11]
	s_mul_i32 s8, s1, s8
	s_add_i32 s7, s8, s7
	s_mul_i32 s7, s7, s0
	s_add_i32 s7, s7, s6
	s_mul_i32 s7, s7, s18
	v_add_u32_e32 v3, s7, v2
	v_mad_u64_u32 v[5:6], s[8:9], v3, s16, v[1:2]
	s_load_dwordx8 s[8:15], s[4:5], 0x0
	s_mul_i32 s1, s1, s0
	s_mov_b32 s17, s3
	s_mul_i32 s7, s18, s16
	s_mul_i32 s1, s1, s2
	s_waitcnt vmcnt(0)
	v_mad_u64_u32 v[8:9], s[4:5], v5, v7, v[0:1]
	v_mov_b32_e32 v5, 0
	v_mov_b32_e32 v6, 0
	;; [unrolled: 1-line block ×3, first 2 shown]
	s_waitcnt lgkmcnt(0)
	v_cmp_gt_u64_e32 vcc, s[10:11], v[3:4]
	s_and_saveexec_b64 s[2:3], vcc
	s_cbranch_execz .LBB0_4
; %bb.1:
	s_mul_i32 s4, s7, s1
	v_mul_lo_u32 v7, s4, v7
	v_lshlrev_b64 v[5:6], 2, v[3:4]
	v_mov_b32_e32 v8, v4
	v_mov_b32_e32 v10, s9
	v_add_co_u32_e32 v9, vcc, s8, v5
	v_addc_co_u32_e32 v10, vcc, v10, v6, vcc
	v_lshlrev_b64 v[11:12], 2, v[7:8]
	v_mov_b32_e32 v5, 0
	v_mov_b32_e32 v14, v4
	s_mov_b64 s[4:5], 0
	v_mov_b32_e32 v6, 0
	v_mov_b32_e32 v13, v3
.LBB0_2:                                ; =>This Inner Loop Header: Depth=1
	global_load_dword v8, v[9:10], off
	v_add_co_u32_e32 v13, vcc, v13, v7
	v_addc_co_u32_e32 v14, vcc, 0, v14, vcc
	v_add_co_u32_e32 v9, vcc, v9, v11
	v_addc_co_u32_e32 v10, vcc, v10, v12, vcc
	v_cmp_le_u64_e32 vcc, s[10:11], v[13:14]
	s_or_b64 s[4:5], vcc, s[4:5]
	s_waitcnt vmcnt(0)
	v_ashrrev_i32_e32 v15, 31, v8
	v_add_co_u32_e32 v5, vcc, v5, v8
	v_addc_co_u32_e32 v6, vcc, v6, v15, vcc
	s_andn2_b64 exec, exec, s[4:5]
	s_cbranch_execnz .LBB0_2
; %bb.3:
	s_or_b64 exec, exec, s[4:5]
.LBB0_4:
	s_or_b64 exec, exec, s[2:3]
	s_and_b32 s4, s17, 0xffff
	v_mad_u32_u24 v7, v2, s16, v1
	v_mad_u64_u32 v[7:8], s[2:3], v7, s4, v[0:1]
	v_lshl_add_u32 v8, v7, 3, 0
	v_cmp_eq_u32_e32 vcc, 0, v7
	ds_write_b64 v8, v[5:6]
	s_waitcnt lgkmcnt(0)
	s_barrier
	s_and_saveexec_b64 s[2:3], vcc
	s_cbranch_execz .LBB0_15
; %bb.5:
	s_mul_i32 s7, s7, s4
	s_cmp_eq_u32 s7, 0
	s_cbranch_scc1 .LBB0_10
; %bb.6:
	s_cmp_lt_u32 s7, 8
	s_mov_b32 s5, 0
	s_cbranch_scc1 .LBB0_11
; %bb.7:
	v_mov_b32_e32 v5, 0
	s_and_b32 s4, s7, -8
	s_mov_b64 s[8:9], 0
	v_mov_b32_e32 v6, 0
	s_mov_b32 s10, s5
.LBB0_8:                                ; =>This Inner Loop Header: Depth=1
	v_mov_b32_e32 v19, s10
	ds_read2_b64 v[7:10], v19 offset1:1
	ds_read2_b64 v[11:14], v19 offset0:2 offset1:3
	ds_read2_b64 v[15:18], v19 offset0:4 offset1:5
	;; [unrolled: 1-line block ×3, first 2 shown]
	s_add_u32 s8, s8, 8
	s_waitcnt lgkmcnt(3)
	v_add_co_u32_e32 v5, vcc, v7, v5
	v_addc_co_u32_e32 v6, vcc, v8, v6, vcc
	v_add_co_u32_e32 v5, vcc, v9, v5
	v_addc_co_u32_e32 v6, vcc, v10, v6, vcc
	s_waitcnt lgkmcnt(2)
	v_add_co_u32_e32 v5, vcc, v11, v5
	v_addc_co_u32_e32 v6, vcc, v12, v6, vcc
	v_add_co_u32_e32 v5, vcc, v13, v5
	v_addc_co_u32_e32 v6, vcc, v14, v6, vcc
	;; [unrolled: 5-line block ×3, first 2 shown]
	s_waitcnt lgkmcnt(0)
	v_add_co_u32_e32 v5, vcc, v19, v5
	v_addc_co_u32_e32 v6, vcc, v20, v6, vcc
	s_addc_u32 s9, s9, 0
	s_add_i32 s10, s10, 64
	v_add_co_u32_e32 v5, vcc, v21, v5
	s_cmp_eq_u64 s[4:5], s[8:9]
	v_addc_co_u32_e32 v6, vcc, v22, v6, vcc
	s_cbranch_scc0 .LBB0_8
; %bb.9:
	s_and_b32 s8, s7, 7
	s_mov_b32 s9, 0
	s_cmp_eq_u64 s[8:9], 0
	s_cbranch_scc0 .LBB0_12
	s_branch .LBB0_14
.LBB0_10:
	v_mov_b32_e32 v5, 0
	v_mov_b32_e32 v6, 0
	s_branch .LBB0_14
.LBB0_11:
	v_mov_b32_e32 v5, 0
	v_mov_b32_e32 v6, 0
	s_mov_b64 s[4:5], 0
	s_and_b32 s8, s7, 7
	s_mov_b32 s9, 0
	s_cmp_eq_u64 s[8:9], 0
	s_cbranch_scc1 .LBB0_14
.LBB0_12:
	s_lshl_b32 s4, s4, 3
	s_add_i32 s4, s4, 0
.LBB0_13:                               ; =>This Inner Loop Header: Depth=1
	v_mov_b32_e32 v7, s4
	ds_read_b64 v[7:8], v7
	s_add_i32 s4, s4, 8
	s_add_u32 s8, s8, -1
	s_addc_u32 s9, s9, -1
	s_cmp_lg_u64 s[8:9], 0
	s_waitcnt lgkmcnt(0)
	v_add_co_u32_e32 v5, vcc, v7, v5
	v_addc_co_u32_e32 v6, vcc, v8, v6, vcc
	s_cbranch_scc1 .LBB0_13
.LBB0_14:
	s_mov_b32 s7, 0
	s_lshl_b64 s[4:5], s[6:7], 3
	s_add_u32 s4, s12, s4
	s_addc_u32 s5, s13, s5
	v_mov_b32_e32 v7, 0
	global_store_dwordx2 v7, v[5:6], s[4:5]
.LBB0_15:
	s_or_b64 exec, exec, s[2:3]
	v_or3_b32 v0, v0, v1, v2
	v_cmp_eq_u32_e32 vcc, 0, v0
	s_waitcnt vmcnt(0)
	s_barrier
	s_and_saveexec_b64 s[2:3], vcc
	s_cbranch_execz .LBB0_17
; %bb.16:
	s_add_i32 s1, s1, -1
	v_mov_b32_e32 v0, s1
	s_mov_b32 m0, 0
	s_nop 0
	ds_gws_barrier v0 gds
	s_waitcnt vmcnt(0) expcnt(0) lgkmcnt(0)
	buffer_wbinvl1_vol
.LBB0_17:
	s_or_b64 exec, exec, s[2:3]
	v_cmp_gt_u32_e32 vcc, s0, v3
	s_barrier
	s_and_saveexec_b64 s[0:1], vcc
	s_cbranch_execz .LBB0_22
; %bb.18:
	v_lshlrev_b64 v[0:1], 3, v[3:4]
	v_mov_b32_e32 v2, s13
	v_add_co_u32_e32 v0, vcc, s12, v0
	v_addc_co_u32_e32 v1, vcc, v2, v1, vcc
	global_load_dwordx2 v[0:1], v[0:1], off
	s_mov_b64 s[2:3], exec
	s_mov_b64 s[0:1], 0
.LBB0_19:                               ; =>This Inner Loop Header: Depth=1
	s_ff1_i32_b64 s4, s[2:3]
	s_waitcnt vmcnt(0)
	v_readlane_b32 s6, v0, s4
	v_readlane_b32 s5, v1, s4
	s_add_u32 s0, s0, s6
	s_addc_u32 s1, s1, s5
	s_lshl_b64 s[4:5], 1, s4
	s_andn2_b64 s[2:3], s[2:3], s[4:5]
	s_cmp_lg_u64 s[2:3], 0
	s_cbranch_scc1 .LBB0_19
; %bb.20:
	v_mbcnt_lo_u32_b32 v0, exec_lo, 0
	v_mbcnt_hi_u32_b32 v0, exec_hi, v0
	v_cmp_eq_u32_e32 vcc, 0, v0
	s_and_saveexec_b64 s[2:3], vcc
	s_xor_b64 s[2:3], exec, s[2:3]
	s_cbranch_execz .LBB0_22
; %bb.21:
	v_mov_b32_e32 v0, s0
	v_mov_b32_e32 v2, 0
	;; [unrolled: 1-line block ×3, first 2 shown]
	global_atomic_add_x2 v2, v[0:1], s[14:15]
.LBB0_22:
	s_endpgm
	.section	.rodata,"a",@progbits
	.p2align	6, 0x0
	.amdhsa_kernel _Z8test_gwsPimPyS0_
		.amdhsa_group_segment_fixed_size 0
		.amdhsa_private_segment_fixed_size 0
		.amdhsa_kernarg_size 288
		.amdhsa_user_sgpr_count 6
		.amdhsa_user_sgpr_private_segment_buffer 1
		.amdhsa_user_sgpr_dispatch_ptr 0
		.amdhsa_user_sgpr_queue_ptr 0
		.amdhsa_user_sgpr_kernarg_segment_ptr 1
		.amdhsa_user_sgpr_dispatch_id 0
		.amdhsa_user_sgpr_flat_scratch_init 0
		.amdhsa_user_sgpr_private_segment_size 0
		.amdhsa_uses_dynamic_stack 0
		.amdhsa_system_sgpr_private_segment_wavefront_offset 0
		.amdhsa_system_sgpr_workgroup_id_x 1
		.amdhsa_system_sgpr_workgroup_id_y 1
		.amdhsa_system_sgpr_workgroup_id_z 1
		.amdhsa_system_sgpr_workgroup_info 0
		.amdhsa_system_vgpr_workitem_id 2
		.amdhsa_next_free_vgpr 23
		.amdhsa_next_free_sgpr 19
		.amdhsa_reserve_vcc 1
		.amdhsa_reserve_flat_scratch 0
		.amdhsa_float_round_mode_32 0
		.amdhsa_float_round_mode_16_64 0
		.amdhsa_float_denorm_mode_32 3
		.amdhsa_float_denorm_mode_16_64 3
		.amdhsa_dx10_clamp 1
		.amdhsa_ieee_mode 1
		.amdhsa_fp16_overflow 0
		.amdhsa_exception_fp_ieee_invalid_op 0
		.amdhsa_exception_fp_denorm_src 0
		.amdhsa_exception_fp_ieee_div_zero 0
		.amdhsa_exception_fp_ieee_overflow 0
		.amdhsa_exception_fp_ieee_underflow 0
		.amdhsa_exception_fp_ieee_inexact 0
		.amdhsa_exception_int_div_zero 0
	.end_amdhsa_kernel
	.text
.Lfunc_end0:
	.size	_Z8test_gwsPimPyS0_, .Lfunc_end0-_Z8test_gwsPimPyS0_
                                        ; -- End function
	.set _Z8test_gwsPimPyS0_.num_vgpr, 23
	.set _Z8test_gwsPimPyS0_.num_agpr, 0
	.set _Z8test_gwsPimPyS0_.numbered_sgpr, 19
	.set _Z8test_gwsPimPyS0_.num_named_barrier, 0
	.set _Z8test_gwsPimPyS0_.private_seg_size, 0
	.set _Z8test_gwsPimPyS0_.uses_vcc, 1
	.set _Z8test_gwsPimPyS0_.uses_flat_scratch, 0
	.set _Z8test_gwsPimPyS0_.has_dyn_sized_stack, 0
	.set _Z8test_gwsPimPyS0_.has_recursion, 0
	.set _Z8test_gwsPimPyS0_.has_indirect_call, 0
	.section	.AMDGPU.csdata,"",@progbits
; Kernel info:
; codeLenInByte = 900
; TotalNumSgprs: 23
; NumVgprs: 23
; ScratchSize: 0
; MemoryBound: 0
; FloatMode: 240
; IeeeMode: 1
; LDSByteSize: 0 bytes/workgroup (compile time only)
; SGPRBlocks: 2
; VGPRBlocks: 5
; NumSGPRsForWavesPerEU: 23
; NumVGPRsForWavesPerEU: 23
; Occupancy: 10
; WaveLimiterHint : 0
; COMPUTE_PGM_RSRC2:SCRATCH_EN: 0
; COMPUTE_PGM_RSRC2:USER_SGPR: 6
; COMPUTE_PGM_RSRC2:TRAP_HANDLER: 0
; COMPUTE_PGM_RSRC2:TGID_X_EN: 1
; COMPUTE_PGM_RSRC2:TGID_Y_EN: 1
; COMPUTE_PGM_RSRC2:TGID_Z_EN: 1
; COMPUTE_PGM_RSRC2:TIDIG_COMP_CNT: 2
	.section	.AMDGPU.gpr_maximums,"",@progbits
	.set amdgpu.max_num_vgpr, 0
	.set amdgpu.max_num_agpr, 0
	.set amdgpu.max_num_sgpr, 0
	.section	.AMDGPU.csdata,"",@progbits
	.type	__hip_cuid_ea4e3699afc18607,@object ; @__hip_cuid_ea4e3699afc18607
	.section	.bss,"aw",@nobits
	.globl	__hip_cuid_ea4e3699afc18607
__hip_cuid_ea4e3699afc18607:
	.byte	0                               ; 0x0
	.size	__hip_cuid_ea4e3699afc18607, 1

	.ident	"AMD clang version 22.0.0git (https://github.com/RadeonOpenCompute/llvm-project roc-7.2.4 26084 f58b06dce1f9c15707c5f808fd002e18c2accf7e)"
	.section	".note.GNU-stack","",@progbits
	.addrsig
	.addrsig_sym __hip_cuid_ea4e3699afc18607
	.amdgpu_metadata
---
amdhsa.kernels:
  - .args:
      - .address_space:  global
        .offset:         0
        .size:           8
        .value_kind:     global_buffer
      - .offset:         8
        .size:           8
        .value_kind:     by_value
      - .address_space:  global
        .offset:         16
        .size:           8
        .value_kind:     global_buffer
      - .address_space:  global
        .offset:         24
        .size:           8
        .value_kind:     global_buffer
      - .offset:         32
        .size:           4
        .value_kind:     hidden_block_count_x
      - .offset:         36
        .size:           4
        .value_kind:     hidden_block_count_y
      - .offset:         40
        .size:           4
        .value_kind:     hidden_block_count_z
      - .offset:         44
        .size:           2
        .value_kind:     hidden_group_size_x
      - .offset:         46
        .size:           2
        .value_kind:     hidden_group_size_y
      - .offset:         48
        .size:           2
        .value_kind:     hidden_group_size_z
      - .offset:         50
        .size:           2
        .value_kind:     hidden_remainder_x
      - .offset:         52
        .size:           2
        .value_kind:     hidden_remainder_y
      - .offset:         54
        .size:           2
        .value_kind:     hidden_remainder_z
      - .offset:         72
        .size:           8
        .value_kind:     hidden_global_offset_x
      - .offset:         80
        .size:           8
        .value_kind:     hidden_global_offset_y
      - .offset:         88
        .size:           8
        .value_kind:     hidden_global_offset_z
      - .offset:         96
        .size:           2
        .value_kind:     hidden_grid_dims
      - .offset:         152
        .size:           4
        .value_kind:     hidden_dynamic_lds_size
    .group_segment_fixed_size: 0
    .kernarg_segment_align: 8
    .kernarg_segment_size: 288
    .language:       OpenCL C
    .language_version:
      - 2
      - 0
    .max_flat_workgroup_size: 1024
    .name:           _Z8test_gwsPimPyS0_
    .private_segment_fixed_size: 0
    .sgpr_count:     23
    .sgpr_spill_count: 0
    .symbol:         _Z8test_gwsPimPyS0_.kd
    .uniform_work_group_size: 1
    .uses_dynamic_stack: false
    .vgpr_count:     23
    .vgpr_spill_count: 0
    .wavefront_size: 64
amdhsa.target:   amdgcn-amd-amdhsa--gfx906
amdhsa.version:
  - 1
  - 2
...

	.end_amdgpu_metadata
